;; amdgpu-corpus repo=ROCm/rocFFT kind=compiled arch=gfx1201 opt=O3
	.text
	.amdgcn_target "amdgcn-amd-amdhsa--gfx1201"
	.amdhsa_code_object_version 6
	.protected	fft_rtc_back_len2048_factors_16_16_8_wgs_256_tpt_256_halfLds_dp_op_CI_CI_unitstride_sbrr_dirReg ; -- Begin function fft_rtc_back_len2048_factors_16_16_8_wgs_256_tpt_256_halfLds_dp_op_CI_CI_unitstride_sbrr_dirReg
	.globl	fft_rtc_back_len2048_factors_16_16_8_wgs_256_tpt_256_halfLds_dp_op_CI_CI_unitstride_sbrr_dirReg
	.p2align	8
	.type	fft_rtc_back_len2048_factors_16_16_8_wgs_256_tpt_256_halfLds_dp_op_CI_CI_unitstride_sbrr_dirReg,@function
fft_rtc_back_len2048_factors_16_16_8_wgs_256_tpt_256_halfLds_dp_op_CI_CI_unitstride_sbrr_dirReg: ; @fft_rtc_back_len2048_factors_16_16_8_wgs_256_tpt_256_halfLds_dp_op_CI_CI_unitstride_sbrr_dirReg
; %bb.0:
	s_clause 0x2
	s_load_b128 s[8:11], s[0:1], 0x0
	s_load_b128 s[4:7], s[0:1], 0x58
	;; [unrolled: 1-line block ×3, first 2 shown]
	v_mov_b32_e32 v1, 0
	v_mov_b32_e32 v13, 0
	v_dual_mov_b32 v14, 0 :: v_dual_mov_b32 v3, ttmp9
	s_mov_b32 s3, 0
	s_delay_alu instid0(VALU_DEP_3) | instskip(SKIP_2) | instid1(VALU_DEP_1)
	v_mov_b32_e32 v4, v1
	s_wait_kmcnt 0x0
	v_cmp_lt_u64_e64 s2, s[10:11], 2
	s_and_b32 vcc_lo, exec_lo, s2
	s_cbranch_vccnz .LBB0_8
; %bb.1:
	s_load_b64 s[20:21], s[0:1], 0x10
	v_mov_b32_e32 v13, 0
	v_mov_b32_e32 v14, 0
	s_add_nc_u64 s[16:17], s[14:15], 8
	s_add_nc_u64 s[18:19], s[12:13], 8
	s_mov_b64 s[22:23], 1
	s_delay_alu instid0(VALU_DEP_1)
	v_dual_mov_b32 v68, v14 :: v_dual_mov_b32 v67, v13
	s_wait_kmcnt 0x0
	s_add_nc_u64 s[20:21], s[20:21], 8
.LBB0_2:                                ; =>This Inner Loop Header: Depth=1
	s_load_b64 s[24:25], s[20:21], 0x0
                                        ; implicit-def: $vgpr69_vgpr70
	s_mov_b32 s2, exec_lo
	s_wait_kmcnt 0x0
	v_or_b32_e32 v2, s25, v4
	s_delay_alu instid0(VALU_DEP_1)
	v_cmpx_ne_u64_e32 0, v[1:2]
	s_wait_alu 0xfffe
	s_xor_b32 s26, exec_lo, s2
	s_cbranch_execz .LBB0_4
; %bb.3:                                ;   in Loop: Header=BB0_2 Depth=1
	s_cvt_f32_u32 s2, s24
	s_cvt_f32_u32 s27, s25
	s_sub_nc_u64 s[30:31], 0, s[24:25]
	s_wait_alu 0xfffe
	s_delay_alu instid0(SALU_CYCLE_1) | instskip(SKIP_1) | instid1(SALU_CYCLE_2)
	s_fmamk_f32 s2, s27, 0x4f800000, s2
	s_wait_alu 0xfffe
	v_s_rcp_f32 s2, s2
	s_delay_alu instid0(TRANS32_DEP_1) | instskip(SKIP_1) | instid1(SALU_CYCLE_2)
	s_mul_f32 s2, s2, 0x5f7ffffc
	s_wait_alu 0xfffe
	s_mul_f32 s27, s2, 0x2f800000
	s_wait_alu 0xfffe
	s_delay_alu instid0(SALU_CYCLE_2) | instskip(SKIP_1) | instid1(SALU_CYCLE_2)
	s_trunc_f32 s27, s27
	s_wait_alu 0xfffe
	s_fmamk_f32 s2, s27, 0xcf800000, s2
	s_cvt_u32_f32 s29, s27
	s_wait_alu 0xfffe
	s_delay_alu instid0(SALU_CYCLE_1) | instskip(SKIP_1) | instid1(SALU_CYCLE_2)
	s_cvt_u32_f32 s28, s2
	s_wait_alu 0xfffe
	s_mul_u64 s[34:35], s[30:31], s[28:29]
	s_wait_alu 0xfffe
	s_mul_hi_u32 s37, s28, s35
	s_mul_i32 s36, s28, s35
	s_mul_hi_u32 s2, s28, s34
	s_mul_i32 s33, s29, s34
	s_wait_alu 0xfffe
	s_add_nc_u64 s[36:37], s[2:3], s[36:37]
	s_mul_hi_u32 s27, s29, s34
	s_mul_hi_u32 s38, s29, s35
	s_add_co_u32 s2, s36, s33
	s_wait_alu 0xfffe
	s_add_co_ci_u32 s2, s37, s27
	s_mul_i32 s34, s29, s35
	s_add_co_ci_u32 s35, s38, 0
	s_wait_alu 0xfffe
	s_add_nc_u64 s[34:35], s[2:3], s[34:35]
	s_wait_alu 0xfffe
	v_add_co_u32 v2, s2, s28, s34
	s_delay_alu instid0(VALU_DEP_1) | instskip(SKIP_1) | instid1(VALU_DEP_1)
	s_cmp_lg_u32 s2, 0
	s_add_co_ci_u32 s29, s29, s35
	v_readfirstlane_b32 s28, v2
	s_wait_alu 0xfffe
	s_delay_alu instid0(VALU_DEP_1)
	s_mul_u64 s[30:31], s[30:31], s[28:29]
	s_wait_alu 0xfffe
	s_mul_hi_u32 s35, s28, s31
	s_mul_i32 s34, s28, s31
	s_mul_hi_u32 s2, s28, s30
	s_mul_i32 s33, s29, s30
	s_wait_alu 0xfffe
	s_add_nc_u64 s[34:35], s[2:3], s[34:35]
	s_mul_hi_u32 s27, s29, s30
	s_mul_hi_u32 s28, s29, s31
	s_wait_alu 0xfffe
	s_add_co_u32 s2, s34, s33
	s_add_co_ci_u32 s2, s35, s27
	s_mul_i32 s30, s29, s31
	s_add_co_ci_u32 s31, s28, 0
	s_wait_alu 0xfffe
	s_add_nc_u64 s[30:31], s[2:3], s[30:31]
	s_wait_alu 0xfffe
	v_add_co_u32 v2, s2, v2, s30
	s_delay_alu instid0(VALU_DEP_1) | instskip(SKIP_1) | instid1(VALU_DEP_1)
	s_cmp_lg_u32 s2, 0
	s_add_co_ci_u32 s2, s29, s31
	v_mul_hi_u32 v11, v3, v2
	s_wait_alu 0xfffe
	v_mad_co_u64_u32 v[5:6], null, v3, s2, 0
	v_mad_co_u64_u32 v[7:8], null, v4, v2, 0
	;; [unrolled: 1-line block ×3, first 2 shown]
	s_delay_alu instid0(VALU_DEP_3) | instskip(SKIP_1) | instid1(VALU_DEP_4)
	v_add_co_u32 v2, vcc_lo, v11, v5
	s_wait_alu 0xfffd
	v_add_co_ci_u32_e32 v5, vcc_lo, 0, v6, vcc_lo
	s_delay_alu instid0(VALU_DEP_2) | instskip(SKIP_1) | instid1(VALU_DEP_2)
	v_add_co_u32 v2, vcc_lo, v2, v7
	s_wait_alu 0xfffd
	v_add_co_ci_u32_e32 v2, vcc_lo, v5, v8, vcc_lo
	s_wait_alu 0xfffd
	v_add_co_ci_u32_e32 v5, vcc_lo, 0, v10, vcc_lo
	s_delay_alu instid0(VALU_DEP_2) | instskip(SKIP_1) | instid1(VALU_DEP_2)
	v_add_co_u32 v2, vcc_lo, v2, v9
	s_wait_alu 0xfffd
	v_add_co_ci_u32_e32 v7, vcc_lo, 0, v5, vcc_lo
	s_delay_alu instid0(VALU_DEP_2) | instskip(SKIP_1) | instid1(VALU_DEP_3)
	v_mul_lo_u32 v8, s25, v2
	v_mad_co_u64_u32 v[5:6], null, s24, v2, 0
	v_mul_lo_u32 v9, s24, v7
	s_delay_alu instid0(VALU_DEP_2) | instskip(NEXT) | instid1(VALU_DEP_2)
	v_sub_co_u32 v5, vcc_lo, v3, v5
	v_add3_u32 v6, v6, v9, v8
	s_delay_alu instid0(VALU_DEP_1) | instskip(SKIP_1) | instid1(VALU_DEP_1)
	v_sub_nc_u32_e32 v8, v4, v6
	s_wait_alu 0xfffd
	v_subrev_co_ci_u32_e64 v8, s2, s25, v8, vcc_lo
	v_add_co_u32 v9, s2, v2, 2
	s_wait_alu 0xf1ff
	v_add_co_ci_u32_e64 v10, s2, 0, v7, s2
	v_sub_co_u32 v11, s2, v5, s24
	v_sub_co_ci_u32_e32 v6, vcc_lo, v4, v6, vcc_lo
	s_wait_alu 0xf1ff
	v_subrev_co_ci_u32_e64 v8, s2, 0, v8, s2
	s_delay_alu instid0(VALU_DEP_3) | instskip(NEXT) | instid1(VALU_DEP_3)
	v_cmp_le_u32_e32 vcc_lo, s24, v11
	v_cmp_eq_u32_e64 s2, s25, v6
	s_wait_alu 0xfffd
	v_cndmask_b32_e64 v11, 0, -1, vcc_lo
	v_cmp_le_u32_e32 vcc_lo, s25, v8
	s_wait_alu 0xfffd
	v_cndmask_b32_e64 v12, 0, -1, vcc_lo
	v_cmp_le_u32_e32 vcc_lo, s24, v5
	;; [unrolled: 3-line block ×3, first 2 shown]
	s_wait_alu 0xfffd
	v_cndmask_b32_e64 v15, 0, -1, vcc_lo
	v_cmp_eq_u32_e32 vcc_lo, s25, v8
	s_wait_alu 0xf1ff
	s_delay_alu instid0(VALU_DEP_2)
	v_cndmask_b32_e64 v5, v15, v5, s2
	s_wait_alu 0xfffd
	v_cndmask_b32_e32 v8, v12, v11, vcc_lo
	v_add_co_u32 v11, vcc_lo, v2, 1
	s_wait_alu 0xfffd
	v_add_co_ci_u32_e32 v12, vcc_lo, 0, v7, vcc_lo
	s_delay_alu instid0(VALU_DEP_3) | instskip(SKIP_2) | instid1(VALU_DEP_3)
	v_cmp_ne_u32_e32 vcc_lo, 0, v8
	s_wait_alu 0xfffd
	v_cndmask_b32_e32 v8, v11, v9, vcc_lo
	v_cndmask_b32_e32 v6, v12, v10, vcc_lo
	v_cmp_ne_u32_e32 vcc_lo, 0, v5
	s_wait_alu 0xfffd
	s_delay_alu instid0(VALU_DEP_2)
	v_dual_cndmask_b32 v69, v2, v8 :: v_dual_cndmask_b32 v70, v7, v6
.LBB0_4:                                ;   in Loop: Header=BB0_2 Depth=1
	s_wait_alu 0xfffe
	s_and_not1_saveexec_b32 s2, s26
	s_cbranch_execz .LBB0_6
; %bb.5:                                ;   in Loop: Header=BB0_2 Depth=1
	v_cvt_f32_u32_e32 v2, s24
	s_sub_co_i32 s26, 0, s24
	v_mov_b32_e32 v70, v1
	s_delay_alu instid0(VALU_DEP_2) | instskip(NEXT) | instid1(TRANS32_DEP_1)
	v_rcp_iflag_f32_e32 v2, v2
	v_mul_f32_e32 v2, 0x4f7ffffe, v2
	s_delay_alu instid0(VALU_DEP_1) | instskip(SKIP_1) | instid1(VALU_DEP_1)
	v_cvt_u32_f32_e32 v2, v2
	s_wait_alu 0xfffe
	v_mul_lo_u32 v5, s26, v2
	s_delay_alu instid0(VALU_DEP_1) | instskip(NEXT) | instid1(VALU_DEP_1)
	v_mul_hi_u32 v5, v2, v5
	v_add_nc_u32_e32 v2, v2, v5
	s_delay_alu instid0(VALU_DEP_1) | instskip(NEXT) | instid1(VALU_DEP_1)
	v_mul_hi_u32 v2, v3, v2
	v_mul_lo_u32 v5, v2, s24
	v_add_nc_u32_e32 v6, 1, v2
	s_delay_alu instid0(VALU_DEP_2) | instskip(NEXT) | instid1(VALU_DEP_1)
	v_sub_nc_u32_e32 v5, v3, v5
	v_subrev_nc_u32_e32 v7, s24, v5
	v_cmp_le_u32_e32 vcc_lo, s24, v5
	s_wait_alu 0xfffd
	s_delay_alu instid0(VALU_DEP_2) | instskip(NEXT) | instid1(VALU_DEP_1)
	v_dual_cndmask_b32 v5, v5, v7 :: v_dual_cndmask_b32 v2, v2, v6
	v_cmp_le_u32_e32 vcc_lo, s24, v5
	s_delay_alu instid0(VALU_DEP_2) | instskip(SKIP_1) | instid1(VALU_DEP_1)
	v_add_nc_u32_e32 v6, 1, v2
	s_wait_alu 0xfffd
	v_cndmask_b32_e32 v69, v2, v6, vcc_lo
.LBB0_6:                                ;   in Loop: Header=BB0_2 Depth=1
	s_wait_alu 0xfffe
	s_or_b32 exec_lo, exec_lo, s2
	v_mul_lo_u32 v2, v70, s24
	s_delay_alu instid0(VALU_DEP_2)
	v_mul_lo_u32 v7, v69, s25
	s_load_b64 s[26:27], s[18:19], 0x0
	v_mad_co_u64_u32 v[5:6], null, v69, s24, 0
	s_load_b64 s[24:25], s[16:17], 0x0
	s_add_nc_u64 s[22:23], s[22:23], 1
	s_add_nc_u64 s[16:17], s[16:17], 8
	s_wait_alu 0xfffe
	v_cmp_ge_u64_e64 s2, s[22:23], s[10:11]
	s_add_nc_u64 s[18:19], s[18:19], 8
	s_add_nc_u64 s[20:21], s[20:21], 8
	v_add3_u32 v2, v6, v7, v2
	v_sub_co_u32 v3, vcc_lo, v3, v5
	s_wait_alu 0xfffd
	s_delay_alu instid0(VALU_DEP_2) | instskip(SKIP_2) | instid1(VALU_DEP_1)
	v_sub_co_ci_u32_e32 v2, vcc_lo, v4, v2, vcc_lo
	s_and_b32 vcc_lo, exec_lo, s2
	s_wait_kmcnt 0x0
	v_mul_lo_u32 v4, s26, v2
	v_mul_lo_u32 v5, s27, v3
	v_mad_co_u64_u32 v[13:14], null, s26, v3, v[13:14]
	v_mul_lo_u32 v2, s24, v2
	v_mul_lo_u32 v6, s25, v3
	v_mad_co_u64_u32 v[67:68], null, s24, v3, v[67:68]
	s_delay_alu instid0(VALU_DEP_4) | instskip(NEXT) | instid1(VALU_DEP_2)
	v_add3_u32 v14, v5, v14, v4
	v_add3_u32 v68, v6, v68, v2
	s_wait_alu 0xfffe
	s_cbranch_vccnz .LBB0_9
; %bb.7:                                ;   in Loop: Header=BB0_2 Depth=1
	v_dual_mov_b32 v3, v69 :: v_dual_mov_b32 v4, v70
	s_branch .LBB0_2
.LBB0_8:
	v_dual_mov_b32 v68, v14 :: v_dual_mov_b32 v67, v13
	v_dual_mov_b32 v70, v4 :: v_dual_mov_b32 v69, v3
.LBB0_9:
	s_load_b64 s[0:1], s[0:1], 0x28
	s_lshl_b64 s[10:11], s[10:11], 3
	v_mov_b32_e32 v99, 0
	s_wait_alu 0xfffe
	s_add_nc_u64 s[2:3], s[14:15], s[10:11]
                                        ; implicit-def: $vgpr3_vgpr4
                                        ; implicit-def: $vgpr29_vgpr30
                                        ; implicit-def: $vgpr11_vgpr12
                                        ; implicit-def: $vgpr25_vgpr26
                                        ; implicit-def: $vgpr7_vgpr8
                                        ; implicit-def: $vgpr33_vgpr34
                                        ; implicit-def: $vgpr21_vgpr22
                                        ; implicit-def: $vgpr37_vgpr38
                                        ; implicit-def: $vgpr49_vgpr50
                                        ; implicit-def: $vgpr45_vgpr46
                                        ; implicit-def: $vgpr61_vgpr62
                                        ; implicit-def: $vgpr53_vgpr54
                                        ; implicit-def: $vgpr65_vgpr66
                                        ; implicit-def: $vgpr57_vgpr58
                                        ; implicit-def: $vgpr41_vgpr42
                                        ; implicit-def: $vgpr17_vgpr18
	s_load_b64 s[2:3], s[2:3], 0x0
	s_wait_kmcnt 0x0
	v_cmp_gt_u64_e32 vcc_lo, s[0:1], v[69:70]
	s_and_saveexec_b32 s1, vcc_lo
	s_cbranch_execz .LBB0_13
; %bb.10:
	s_mov_b32 s14, exec_lo
                                        ; implicit-def: $vgpr15_vgpr16
                                        ; implicit-def: $vgpr39_vgpr40
                                        ; implicit-def: $vgpr55_vgpr56
                                        ; implicit-def: $vgpr63_vgpr64
                                        ; implicit-def: $vgpr51_vgpr52
                                        ; implicit-def: $vgpr59_vgpr60
                                        ; implicit-def: $vgpr43_vgpr44
                                        ; implicit-def: $vgpr47_vgpr48
                                        ; implicit-def: $vgpr35_vgpr36
                                        ; implicit-def: $vgpr19_vgpr20
                                        ; implicit-def: $vgpr31_vgpr32
                                        ; implicit-def: $vgpr5_vgpr6
                                        ; implicit-def: $vgpr23_vgpr24
                                        ; implicit-def: $vgpr9_vgpr10
                                        ; implicit-def: $vgpr27_vgpr28
                                        ; implicit-def: $vgpr1_vgpr2
	v_cmpx_gt_u32_e32 0x80, v0
	s_cbranch_execz .LBB0_12
; %bb.11:
	s_add_nc_u64 s[10:11], s[12:13], s[10:11]
	v_lshlrev_b32_e32 v5, 4, v0
	s_load_b64 s[10:11], s[10:11], 0x0
	s_delay_alu instid0(VALU_DEP_1)
	v_or_b32_e32 v6, 0x3000, v5
	v_or_b32_e32 v7, 0x3800, v5
	;; [unrolled: 1-line block ×3, first 2 shown]
	s_wait_kmcnt 0x0
	v_mul_lo_u32 v3, s11, v69
	v_mul_lo_u32 v4, s10, v70
	v_mad_co_u64_u32 v[1:2], null, s10, v69, 0
	s_delay_alu instid0(VALU_DEP_1) | instskip(SKIP_1) | instid1(VALU_DEP_2)
	v_add3_u32 v2, v2, v4, v3
	v_lshlrev_b64_e32 v[3:4], 4, v[13:14]
	v_lshlrev_b64_e32 v[1:2], 4, v[1:2]
	s_delay_alu instid0(VALU_DEP_1) | instskip(SKIP_1) | instid1(VALU_DEP_2)
	v_add_co_u32 v1, s0, s4, v1
	s_wait_alu 0xf1ff
	v_add_co_ci_u32_e64 v2, s0, s5, v2, s0
	s_delay_alu instid0(VALU_DEP_2) | instskip(SKIP_1) | instid1(VALU_DEP_2)
	v_add_co_u32 v1, s0, v1, v3
	s_wait_alu 0xf1ff
	v_add_co_ci_u32_e64 v2, s0, v2, v4, s0
	v_or_b32_e32 v3, 0x7800, v5
	s_delay_alu instid0(VALU_DEP_3) | instskip(SKIP_1) | instid1(VALU_DEP_3)
	v_add_co_u32 v13, s0, v1, v5
	s_wait_alu 0xf1ff
	v_add_co_ci_u32_e64 v14, s0, 0, v2, s0
	v_add_co_u32 v19, s0, v1, v6
	s_wait_alu 0xf1ff
	v_add_co_ci_u32_e64 v20, s0, 0, v2, s0
	;; [unrolled: 3-line block ×5, first 2 shown]
	s_clause 0xf
	global_load_b128 v[15:18], v[13:14], off
	global_load_b128 v[1:4], v[13:14], off offset:2048
	global_load_b128 v[27:30], v[13:14], off offset:4096
	;; [unrolled: 1-line block ×5, first 2 shown]
	global_load_b128 v[31:34], v[19:20], off
	global_load_b128 v[19:22], v[21:22], off
	global_load_b128 v[35:38], v[13:14], off offset:16384
	global_load_b128 v[39:42], v[13:14], off offset:18432
	;; [unrolled: 1-line block ×6, first 2 shown]
	global_load_b128 v[63:66], v[55:56], off
	global_load_b128 v[55:58], v[57:58], off
.LBB0_12:
	s_or_b32 exec_lo, exec_lo, s14
	v_mov_b32_e32 v99, v0
.LBB0_13:
	s_wait_alu 0xfffe
	s_or_b32 exec_lo, exec_lo, s1
	s_wait_loadcnt 0x7
	v_add_f64_e64 v[13:14], v[15:16], -v[35:36]
	s_wait_loadcnt 0x3
	v_add_f64_e64 v[61:62], v[25:26], -v[61:62]
	v_add_f64_e64 v[35:36], v[27:28], -v[47:48]
	s_wait_loadcnt 0x1
	v_add_f64_e64 v[47:48], v[33:34], -v[65:66]
	v_add_f64_e64 v[39:40], v[1:2], -v[39:40]
	;; [unrolled: 1-line block ×4, first 2 shown]
	s_wait_loadcnt 0x0
	v_add_f64_e64 v[57:58], v[21:22], -v[57:58]
	v_add_f64_e64 v[43:44], v[23:24], -v[59:60]
	;; [unrolled: 1-line block ×8, first 2 shown]
	s_mov_b32 s4, 0x667f3bcd
	s_mov_b32 s5, 0x3fe6a09e
	;; [unrolled: 1-line block ×3, first 2 shown]
	s_wait_alu 0xfffe
	s_mov_b32 s0, s4
	s_mov_b32 s11, 0xbfed906b
	;; [unrolled: 1-line block ×7, first 2 shown]
	v_fma_f64 v[15:16], v[15:16], 2.0, -v[13:14]
	v_add_f64_e32 v[55:56], v[61:62], v[13:14]
	v_fma_f64 v[83:84], v[27:28], 2.0, -v[35:36]
	v_add_f64_e32 v[65:66], v[35:36], v[47:48]
	;; [unrolled: 2-line block ×4, first 2 shown]
	v_fma_f64 v[23:24], v[23:24], 2.0, -v[43:44]
	v_fma_f64 v[27:28], v[29:30], 2.0, -v[59:60]
	;; [unrolled: 1-line block ×4, first 2 shown]
	v_add_f64_e64 v[77:78], v[59:60], -v[49:50]
	v_add_f64_e64 v[33:34], v[41:42], -v[51:52]
	;; [unrolled: 1-line block ×3, first 2 shown]
	v_fma_f64 v[5:6], v[5:6], 2.0, -v[51:52]
	v_fma_f64 v[11:12], v[11:12], 2.0, -v[63:64]
	v_fma_f64 v[19:20], v[19:20], 2.0, -v[45:46]
	v_fma_f64 v[21:22], v[21:22], 2.0, -v[57:58]
	v_fma_f64 v[7:8], v[7:8], 2.0, -v[53:54]
	v_fma_f64 v[3:4], v[3:4], 2.0, -v[41:42]
	v_fma_f64 v[13:14], v[13:14], 2.0, -v[55:56]
	v_fma_f64 v[79:80], v[35:36], 2.0, -v[65:66]
	v_fma_f64 v[35:36], v[39:40], 2.0, -v[73:74]
	v_fma_f64 v[39:40], v[71:72], 2.0, -v[75:76]
	v_add_f64_e64 v[23:24], v[15:16], -v[23:24]
	v_add_f64_e64 v[45:46], v[83:84], -v[29:30]
	;; [unrolled: 1-line block ×3, first 2 shown]
	v_fma_f64 v[81:82], v[59:60], 2.0, -v[77:78]
	v_fma_f64 v[29:30], v[41:42], 2.0, -v[33:34]
	v_fma_f64 v[31:32], v[65:66], s[4:5], v[55:56]
	v_fma_f64 v[51:52], v[63:64], 2.0, -v[47:48]
	v_add_f64_e64 v[5:6], v[1:2], -v[5:6]
	v_add_f64_e64 v[41:42], v[9:10], -v[19:20]
	;; [unrolled: 1-line block ×3, first 2 shown]
	v_fma_f64 v[19:20], v[75:76], s[4:5], v[73:74]
	v_add_f64_e64 v[7:8], v[3:4], -v[7:8]
	v_fma_f64 v[59:60], v[47:48], s[4:5], v[33:34]
	s_wait_alu 0xfffe
	v_fma_f64 v[53:54], v[79:80], s[0:1], v[13:14]
	v_fma_f64 v[57:58], v[39:40], s[0:1], v[35:36]
	v_fma_f64 v[15:16], v[15:16], 2.0, -v[23:24]
	v_fma_f64 v[63:64], v[83:84], 2.0, -v[45:46]
	v_add_f64_e32 v[87:88], v[49:50], v[23:24]
	v_fma_f64 v[91:92], v[77:78], s[4:5], v[31:32]
	v_fma_f64 v[31:32], v[51:52], s[0:1], v[29:30]
	v_fma_f64 v[1:2], v[1:2], 2.0, -v[5:6]
	v_fma_f64 v[9:10], v[9:10], 2.0, -v[41:42]
	v_add_f64_e32 v[83:84], v[21:22], v[5:6]
	v_fma_f64 v[19:20], v[47:48], s[4:5], v[19:20]
	v_add_f64_e64 v[85:86], v[7:8], -v[41:42]
	v_fma_f64 v[47:48], v[75:76], s[0:1], v[59:60]
	v_fma_f64 v[93:94], v[81:82], s[4:5], v[53:54]
	v_fma_f64 v[53:54], v[3:4], 2.0, -v[7:8]
	v_fma_f64 v[3:4], v[11:12], 2.0, -v[21:22]
	v_fma_f64 v[51:52], v[51:52], s[4:5], v[57:58]
	v_add_f64_e64 v[41:42], v[15:16], -v[63:64]
	v_fma_f64 v[95:96], v[23:24], 2.0, -v[87:88]
	v_fma_f64 v[100:101], v[55:56], 2.0, -v[91:92]
	v_fma_f64 v[63:64], v[39:40], s[0:1], v[31:32]
	v_add_f64_e64 v[55:56], v[1:2], -v[9:10]
	v_fma_f64 v[89:90], v[5:6], 2.0, -v[83:84]
	v_fma_f64 v[59:60], v[73:74], 2.0, -v[19:20]
	;; [unrolled: 1-line block ×5, first 2 shown]
	v_add_f64_e64 v[73:74], v[53:54], -v[3:4]
	v_fma_f64 v[57:58], v[35:36], 2.0, -v[51:52]
	v_fma_f64 v[11:12], v[51:52], s[12:13], v[93:94]
	v_fma_f64 v[5:6], v[15:16], 2.0, -v[41:42]
	v_fma_f64 v[15:16], v[83:84], s[4:5], v[87:88]
	v_fma_f64 v[75:76], v[29:30], 2.0, -v[63:64]
	v_fma_f64 v[1:2], v[1:2], 2.0, -v[55:56]
	v_fma_f64 v[3:4], v[89:90], s[0:1], v[95:96]
	v_fma_f64 v[7:8], v[59:60], s[14:15], v[100:101]
	v_cmp_gt_u32_e64 s0, 0x80, v0
	v_add_f64_e32 v[9:10], v[73:74], v[41:42]
	v_fma_f64 v[13:14], v[57:58], s[10:11], v[102:103]
	s_mov_b32 s11, 0x3fed906b
	s_wait_alu 0xfffe
	v_fma_f64 v[23:24], v[19:20], s[10:11], v[91:92]
	v_fma_f64 v[11:12], v[63:64], s[10:11], v[11:12]
	;; [unrolled: 1-line block ×3, first 2 shown]
	v_add_f64_e64 v[1:2], v[5:6], -v[1:2]
	v_fma_f64 v[29:30], v[97:98], s[4:5], v[3:4]
	v_fma_f64 v[31:32], v[71:72], s[10:11], v[7:8]
	;; [unrolled: 1-line block ×3, first 2 shown]
	v_fma_f64 v[13:14], v[41:42], 2.0, -v[9:10]
	v_fma_f64 v[23:24], v[47:48], s[12:13], v[23:24]
	v_fma_f64 v[15:16], v[93:94], 2.0, -v[11:12]
	v_fma_f64 v[33:34], v[87:88], 2.0, -v[21:22]
	;; [unrolled: 1-line block ×5, first 2 shown]
	v_lshl_add_u32 v100, v0, 7, 0
	v_fma_f64 v[7:8], v[102:103], 2.0, -v[3:4]
	v_fma_f64 v[35:36], v[91:92], 2.0, -v[23:24]
	s_and_saveexec_b32 s1, s0
	s_cbranch_execz .LBB0_15
; %bb.14:
	ds_store_b128 v100, v[5:8]
	ds_store_b128 v100, v[39:42] offset:16
	ds_store_b128 v100, v[13:16] offset:32
	;; [unrolled: 1-line block ×7, first 2 shown]
.LBB0_15:
	s_wait_alu 0xfffe
	s_or_b32 exec_lo, exec_lo, s1
	v_mul_f64_e32 v[87:88], s[4:5], v[79:80]
	v_mul_f64_e32 v[91:92], s[4:5], v[81:82]
	;; [unrolled: 1-line block ×8, first 2 shown]
	v_lshl_add_u32 v83, v0, 3, 0
	v_lshlrev_b32_e32 v84, 3, v0
	global_wb scope:SCOPE_SE
	s_wait_dscnt 0x0
	s_barrier_signal -1
	s_barrier_wait -1
	global_inv scope:SCOPE_SE
	s_and_saveexec_b32 s1, s0
	s_cbranch_execz .LBB0_17
; %bb.16:
	v_add_nc_u32_e32 v1, 0, v84
	ds_load_2addr_stride64_b64 v[5:8], v83 offset1:2
	v_or_b32_e32 v2, 0x1c00, v84
	ds_load_2addr_stride64_b64 v[39:42], v83 offset0:4 offset1:6
	ds_load_2addr_stride64_b64 v[13:16], v83 offset0:8 offset1:10
	ds_load_2addr_stride64_b64 v[101:104], v1 offset0:12 offset1:28
	v_or_b32_e32 v3, 0x3c00, v84
	v_add_nc_u32_e32 v21, 0, v2
	s_wait_dscnt 0x0
	s_delay_alu instid0(VALU_DEP_2)
	v_dual_mov_b32 v33, v101 :: v_dual_add_nc_u32 v22, 0, v3
	ds_load_2addr_stride64_b64 v[1:4], v83 offset0:16 offset1:18
	ds_load_2addr_stride64_b64 v[29:32], v83 offset0:20 offset1:22
	;; [unrolled: 1-line block ×3, first 2 shown]
	ds_load_b64 v[35:36], v21
	ds_load_b64 v[23:24], v22
	v_dual_mov_b32 v21, v103 :: v_dual_mov_b32 v34, v102
	v_mov_b32_e32 v22, v104
.LBB0_17:
	s_wait_alu 0xfffe
	s_or_b32 exec_lo, exec_lo, s1
	v_add_f64_e64 v[37:38], v[17:18], -v[37:38]
	v_fma_f64 v[25:26], v[25:26], 2.0, -v[61:62]
	v_fma_f64 v[27:28], v[27:28], 2.0, -v[49:50]
	s_mov_b32 s4, 0xa6aea964
	s_mov_b32 s5, 0xbfd87de2
	;; [unrolled: 1-line block ×3, first 2 shown]
	s_wait_alu 0xfffe
	s_mov_b32 s10, s4
	global_wb scope:SCOPE_SE
	s_wait_dscnt 0x0
	s_barrier_signal -1
	s_barrier_wait -1
	global_inv scope:SCOPE_SE
	v_add_f64_e64 v[43:44], v[37:38], -v[43:44]
	v_fma_f64 v[17:18], v[17:18], 2.0, -v[37:38]
	s_delay_alu instid0(VALU_DEP_2) | instskip(SKIP_1) | instid1(VALU_DEP_3)
	v_fma_f64 v[37:38], v[37:38], 2.0, -v[43:44]
	v_add_f64_e32 v[61:62], v[95:96], v[43:44]
	v_add_f64_e64 v[25:26], v[17:18], -v[25:26]
	s_delay_alu instid0(VALU_DEP_3) | instskip(NEXT) | instid1(VALU_DEP_3)
	v_add_f64_e64 v[85:86], v[37:38], -v[91:92]
	v_add_f64_e64 v[61:62], v[61:62], -v[93:94]
	s_delay_alu instid0(VALU_DEP_3) | instskip(SKIP_1) | instid1(VALU_DEP_4)
	v_fma_f64 v[17:18], v[17:18], 2.0, -v[25:26]
	v_add_f64_e64 v[89:90], v[25:26], -v[45:46]
	v_add_f64_e64 v[49:50], v[85:86], -v[87:88]
	s_delay_alu instid0(VALU_DEP_4) | instskip(NEXT) | instid1(VALU_DEP_4)
	v_fma_f64 v[85:86], v[43:44], 2.0, -v[61:62]
	v_add_f64_e64 v[87:88], v[17:18], -v[27:28]
	s_delay_alu instid0(VALU_DEP_4) | instskip(NEXT) | instid1(VALU_DEP_4)
	v_fma_f64 v[91:92], v[25:26], 2.0, -v[89:90]
	v_fma_f64 v[37:38], v[37:38], 2.0, -v[49:50]
	s_delay_alu instid0(VALU_DEP_4)
	v_fma_f64 v[25:26], v[71:72], s[4:5], v[85:86]
	s_wait_alu 0xfffe
	v_fma_f64 v[27:28], v[63:64], s[10:11], v[49:50]
	s_mov_b32 s11, 0xbfed906b
	s_mov_b32 s10, 0xcf328d46
	v_fma_f64 v[63:64], v[53:54], 2.0, -v[73:74]
	v_fma_f64 v[17:18], v[17:18], 2.0, -v[87:88]
	v_add_f64_e64 v[71:72], v[91:92], -v[81:82]
	v_add_f64_e64 v[43:44], v[87:88], -v[55:56]
	s_wait_alu 0xfffe
	v_fma_f64 v[73:74], v[75:76], s[10:11], v[37:38]
	v_fma_f64 v[53:54], v[59:60], s[10:11], v[25:26]
	;; [unrolled: 1-line block ×3, first 2 shown]
	s_mov_b32 s11, 0x3fed906b
	v_add_f64_e32 v[59:60], v[79:80], v[89:90]
	s_wait_alu 0xfffe
	v_fma_f64 v[47:48], v[47:48], s[10:11], v[61:62]
	v_add_f64_e64 v[25:26], v[17:18], -v[63:64]
	v_add_f64_e64 v[51:52], v[71:72], -v[65:66]
	v_fma_f64 v[27:28], v[57:58], s[4:5], v[73:74]
	v_fma_f64 v[65:66], v[85:86], 2.0, -v[53:54]
	v_fma_f64 v[49:50], v[49:50], 2.0, -v[45:46]
	v_add_f64_e64 v[55:56], v[59:60], -v[77:78]
	v_fma_f64 v[57:58], v[19:20], s[4:5], v[47:48]
	v_fma_f64 v[47:48], v[87:88], 2.0, -v[43:44]
	v_fma_f64 v[17:18], v[17:18], 2.0, -v[25:26]
	v_fma_f64 v[63:64], v[91:92], 2.0, -v[51:52]
	v_fma_f64 v[19:20], v[37:38], 2.0, -v[27:28]
	v_fma_f64 v[59:60], v[89:90], 2.0, -v[55:56]
	v_fma_f64 v[61:62], v[61:62], 2.0, -v[57:58]
	s_and_saveexec_b32 s1, s0
	s_cbranch_execz .LBB0_19
; %bb.18:
	ds_store_b128 v100, v[17:20]
	ds_store_b128 v100, v[63:66] offset:16
	ds_store_b128 v100, v[47:50] offset:32
	;; [unrolled: 1-line block ×7, first 2 shown]
.LBB0_19:
	s_wait_alu 0xfffe
	s_or_b32 exec_lo, exec_lo, s1
	global_wb scope:SCOPE_SE
	s_wait_dscnt 0x0
	s_barrier_signal -1
	s_barrier_wait -1
	global_inv scope:SCOPE_SE
	s_and_saveexec_b32 s1, s0
	s_cbranch_execz .LBB0_21
; %bb.20:
	v_add_nc_u32_e32 v25, 0, v84
	ds_load_2addr_stride64_b64 v[17:20], v83 offset1:2
	v_or_b32_e32 v26, 0x1c00, v84
	ds_load_2addr_stride64_b64 v[63:66], v83 offset0:4 offset1:6
	ds_load_2addr_stride64_b64 v[47:50], v83 offset0:8 offset1:10
	;; [unrolled: 1-line block ×3, first 2 shown]
	v_or_b32_e32 v27, 0x3c00, v84
	v_add_nc_u32_e32 v37, 0, v26
	s_wait_dscnt 0x0
	s_delay_alu instid0(VALU_DEP_2)
	v_dual_mov_b32 v55, v73 :: v_dual_add_nc_u32 v38, 0, v27
	v_dual_mov_b32 v59, v71 :: v_dual_mov_b32 v60, v72
	ds_load_2addr_stride64_b64 v[25:28], v83 offset0:16 offset1:18
	ds_load_2addr_stride64_b64 v[51:54], v83 offset0:20 offset1:22
	;; [unrolled: 1-line block ×3, first 2 shown]
	ds_load_b64 v[61:62], v37
	ds_load_b64 v[57:58], v38
	v_mov_b32_e32 v56, v74
.LBB0_21:
	s_wait_alu 0xfffe
	s_or_b32 exec_lo, exec_lo, s1
	v_and_b32_e32 v81, 15, v0
	s_mov_b32 s4, 0x667f3bcd
	s_mov_b32 s5, 0x3fe6a09e
	;; [unrolled: 1-line block ×3, first 2 shown]
	s_wait_alu 0xfffe
	s_mov_b32 s10, s4
	v_mul_u32_u24_e32 v37, 15, v81
	s_delay_alu instid0(VALU_DEP_1)
	v_lshlrev_b32_e32 v82, 4, v37
	s_clause 0x9
	global_load_b128 v[71:74], v82, s[8:9] offset:16
	global_load_b128 v[75:78], v82, s[8:9] offset:32
	;; [unrolled: 1-line block ×4, first 2 shown]
	global_load_b128 v[92:95], v82, s[8:9]
	global_load_b128 v[100:103], v82, s[8:9] offset:64
	global_load_b128 v[104:107], v82, s[8:9] offset:128
	;; [unrolled: 1-line block ×5, first 2 shown]
	s_wait_loadcnt 0x9
	v_mul_f64_e32 v[37:38], v[63:64], v[73:74]
	v_mul_f64_e32 v[73:74], v[39:40], v[73:74]
	s_wait_loadcnt 0x8
	v_mul_f64_e32 v[79:80], v[65:66], v[77:78]
	v_mul_f64_e32 v[77:78], v[41:42], v[77:78]
	s_delay_alu instid0(VALU_DEP_4) | instskip(NEXT) | instid1(VALU_DEP_4)
	v_fma_f64 v[96:97], v[39:40], v[71:72], v[37:38]
	v_fma_f64 v[120:121], v[63:64], v[71:72], -v[73:74]
	global_load_b128 v[71:74], v82, s[8:9] offset:224
	s_wait_loadcnt 0x8
	v_mul_f64_e32 v[63:64], v[59:60], v[86:87]
	v_mul_f64_e32 v[86:87], v[33:34], v[86:87]
	v_fma_f64 v[41:42], v[41:42], v[75:76], v[79:80]
	v_fma_f64 v[79:80], v[65:66], v[75:76], -v[77:78]
	s_wait_loadcnt_dscnt 0x701
	v_mul_f64_e32 v[75:76], v[61:62], v[90:91]
	global_load_b128 v[37:40], v82, s[8:9] offset:112
	v_fma_f64 v[122:123], v[33:34], v[84:85], v[63:64]
	global_load_b128 v[63:66], v82, s[8:9] offset:144
	v_fma_f64 v[84:85], v[59:60], v[84:85], -v[86:87]
	v_mul_f64_e32 v[59:60], v[35:36], v[90:91]
	v_fma_f64 v[86:87], v[35:36], v[88:89], v[75:76]
	global_load_b128 v[33:36], v82, s[8:9] offset:208
	s_wait_loadcnt 0x9
	v_mul_f64_e32 v[75:76], v[7:8], v[94:95]
	s_wait_loadcnt 0x8
	v_mul_f64_e32 v[90:91], v[15:16], v[102:103]
	v_fma_f64 v[59:60], v[61:62], v[88:89], -v[59:60]
	v_mul_f64_e32 v[61:62], v[19:20], v[94:95]
	v_mul_f64_e32 v[88:89], v[49:50], v[102:103]
	v_fma_f64 v[19:20], v[19:20], v[92:93], -v[75:76]
	global_load_b128 v[75:78], v82, s[8:9] offset:176
	v_fma_f64 v[49:50], v[49:50], v[100:101], -v[90:91]
	s_wait_loadcnt 0x7
	v_mul_f64_e32 v[90:91], v[53:54], v[110:111]
	v_lshlrev_b32_e32 v82, 4, v0
	global_wb scope:SCOPE_SE
	s_wait_loadcnt_dscnt 0x0
	s_barrier_signal -1
	s_barrier_wait -1
	global_inv scope:SCOPE_SE
	v_fma_f64 v[7:8], v[7:8], v[92:93], v[61:62]
	v_mul_f64_e32 v[61:62], v[27:28], v[106:107]
	v_fma_f64 v[15:16], v[15:16], v[100:101], v[88:89]
	v_mul_f64_e32 v[88:89], v[3:4], v[106:107]
	s_delay_alu instid0(VALU_DEP_3) | instskip(SKIP_1) | instid1(VALU_DEP_3)
	v_fma_f64 v[3:4], v[3:4], v[104:105], v[61:62]
	v_mul_f64_e32 v[61:62], v[31:32], v[110:111]
	v_fma_f64 v[27:28], v[27:28], v[104:105], -v[88:89]
	v_mul_f64_e32 v[88:89], v[45:46], v[114:115]
	v_fma_f64 v[31:32], v[31:32], v[108:109], v[90:91]
	v_add_f64_e64 v[3:4], v[7:8], -v[3:4]
	v_fma_f64 v[53:54], v[53:54], v[108:109], -v[61:62]
	v_mul_f64_e32 v[61:62], v[11:12], v[114:115]
	v_fma_f64 v[11:12], v[11:12], v[112:113], v[88:89]
	v_add_f64_e64 v[27:28], v[19:20], -v[27:28]
	v_add_f64_e64 v[31:32], v[41:42], -v[31:32]
	;; [unrolled: 1-line block ×3, first 2 shown]
	v_fma_f64 v[45:46], v[45:46], v[112:113], -v[61:62]
	v_add_f64_e64 v[11:12], v[15:16], -v[11:12]
	v_fma_f64 v[19:20], v[19:20], 2.0, -v[27:28]
	v_fma_f64 v[41:42], v[41:42], 2.0, -v[31:32]
	s_delay_alu instid0(VALU_DEP_4) | instskip(SKIP_2) | instid1(VALU_DEP_2)
	v_add_f64_e64 v[45:46], v[49:50], -v[45:46]
	v_mul_f64_e32 v[90:91], v[23:24], v[73:74]
	v_mul_f64_e32 v[61:62], v[57:58], v[73:74]
	v_fma_f64 v[57:58], v[57:58], v[71:72], -v[90:91]
	s_delay_alu instid0(VALU_DEP_2)
	v_fma_f64 v[23:24], v[23:24], v[71:72], v[61:62]
	v_mul_f64_e32 v[73:74], v[51:52], v[65:66]
	v_mul_f64_e32 v[61:62], v[29:30], v[65:66]
	;; [unrolled: 1-line block ×4, first 2 shown]
	v_add_f64_e64 v[57:58], v[59:60], -v[57:58]
	v_add_f64_e64 v[23:24], v[86:87], -v[23:24]
	v_fma_f64 v[29:30], v[29:30], v[63:64], v[73:74]
	v_fma_f64 v[51:52], v[51:52], v[63:64], -v[61:62]
	v_fma_f64 v[21:22], v[21:22], v[33:34], v[65:66]
	v_fma_f64 v[33:34], v[55:56], v[33:34], -v[35:36]
	v_fma_f64 v[35:36], v[7:8], 2.0, -v[3:4]
	v_fma_f64 v[7:8], v[15:16], 2.0, -v[11:12]
	;; [unrolled: 1-line block ×4, first 2 shown]
	v_add_f64_e32 v[45:46], v[3:4], v[45:46]
	v_add_f64_e64 v[55:56], v[27:28], -v[11:12]
	v_add_f64_e32 v[61:62], v[31:32], v[57:58]
	v_add_f64_e64 v[63:64], v[53:54], -v[23:24]
	v_fma_f64 v[11:12], v[59:60], 2.0, -v[57:58]
	v_fma_f64 v[23:24], v[86:87], 2.0, -v[23:24]
	v_add_f64_e64 v[29:30], v[96:97], -v[29:30]
	v_add_f64_e64 v[51:52], v[120:121], -v[51:52]
	;; [unrolled: 1-line block ×4, first 2 shown]
	v_mul_f64_e32 v[57:58], v[47:48], v[118:119]
	v_add_f64_e64 v[65:66], v[35:36], -v[7:8]
	v_add_f64_e64 v[71:72], v[19:20], -v[15:16]
	v_mul_f64_e32 v[7:8], v[43:44], v[77:78]
	v_fma_f64 v[86:87], v[3:4], 2.0, -v[45:46]
	v_fma_f64 v[88:89], v[27:28], 2.0, -v[55:56]
	v_mul_f64_e32 v[3:4], v[13:14], v[118:119]
	v_fma_f64 v[31:32], v[31:32], 2.0, -v[61:62]
	v_fma_f64 v[27:28], v[53:54], 2.0, -v[63:64]
	v_add_f64_e64 v[15:16], v[49:50], -v[11:12]
	v_add_f64_e64 v[23:24], v[41:42], -v[23:24]
	v_mul_f64_e32 v[53:54], v[9:10], v[77:78]
	v_fma_f64 v[77:78], v[61:62], s[4:5], v[45:46]
	v_add_f64_e64 v[90:91], v[51:52], -v[21:22]
	v_add_f64_e32 v[73:74], v[29:30], v[33:34]
	v_fma_f64 v[79:80], v[63:64], s[4:5], v[55:56]
	v_fma_f64 v[11:12], v[13:14], v[116:117], v[57:58]
	v_fma_f64 v[57:58], v[120:121], 2.0, -v[51:52]
	v_fma_f64 v[9:10], v[9:10], v[75:76], v[7:8]
	v_fma_f64 v[7:8], v[96:97], 2.0, -v[29:30]
	v_fma_f64 v[21:22], v[122:123], 2.0, -v[21:22]
	v_fma_f64 v[59:60], v[47:48], v[116:117], -v[3:4]
	v_fma_f64 v[33:34], v[84:85], 2.0, -v[33:34]
	v_fma_f64 v[3:4], v[35:36], 2.0, -v[65:66]
	s_wait_alu 0xfffe
	v_fma_f64 v[13:14], v[31:32], s[10:11], v[86:87]
	v_fma_f64 v[92:93], v[27:28], s[10:11], v[88:89]
	v_add_f64_e32 v[94:95], v[65:66], v[15:16]
	v_add_f64_e64 v[100:101], v[71:72], -v[23:24]
	v_fma_f64 v[43:44], v[43:44], v[75:76], -v[53:54]
	v_fma_f64 v[35:36], v[49:50], 2.0, -v[15:16]
	v_fma_f64 v[51:52], v[51:52], 2.0, -v[90:91]
	;; [unrolled: 1-line block ×5, first 2 shown]
	v_fma_f64 v[15:16], v[63:64], s[4:5], v[77:78]
	v_fma_f64 v[23:24], v[61:62], s[10:11], v[79:80]
	v_add_f64_e64 v[77:78], v[11:12], -v[9:10]
	v_add_f64_e64 v[61:62], v[7:8], -v[21:22]
	v_mul_f64_e32 v[75:76], s[4:5], v[90:91]
	v_add_f64_e64 v[63:64], v[57:58], -v[33:34]
	v_fma_f64 v[27:28], v[27:28], s[4:5], v[13:14]
	v_fma_f64 v[41:42], v[31:32], s[10:11], v[92:93]
	v_fma_f64 v[13:14], v[65:66], 2.0, -v[94:95]
	v_fma_f64 v[84:85], v[71:72], 2.0, -v[100:101]
	v_add_f64_e64 v[79:80], v[59:60], -v[43:44]
	v_mul_f64_e32 v[71:72], s[4:5], v[73:74]
	v_mul_f64_e32 v[73:74], s[4:5], v[51:52]
	;; [unrolled: 1-line block ×3, first 2 shown]
	v_add_f64_e64 v[49:50], v[29:30], -v[35:36]
	v_add_f64_e64 v[31:32], v[3:4], -v[19:20]
	v_fma_f64 v[45:46], v[45:46], 2.0, -v[15:16]
	v_fma_f64 v[53:54], v[55:56], 2.0, -v[23:24]
	v_mul_f64_e32 v[35:36], s[4:5], v[94:95]
	v_mul_f64_e32 v[55:56], s[4:5], v[100:101]
	v_fma_f64 v[33:34], v[86:87], 2.0, -v[27:28]
	v_fma_f64 v[47:48], v[88:89], 2.0, -v[41:42]
	v_mul_f64_e32 v[43:44], s[4:5], v[13:14]
	v_mul_f64_e32 v[51:52], s[4:5], v[84:85]
	s_and_saveexec_b32 s1, s0
	s_cbranch_execz .LBB0_23
; %bb.22:
	v_mul_f64_e32 v[9:10], v[25:26], v[39:40]
	v_fma_f64 v[11:12], v[11:12], 2.0, -v[77:78]
	v_fma_f64 v[7:8], v[7:8], 2.0, -v[61:62]
	s_mov_b32 s4, 0xa6aea964
	s_mov_b32 s5, 0x3fd87de2
	;; [unrolled: 1-line block ×3, first 2 shown]
	s_wait_alu 0xfffe
	s_mov_b32 s10, s4
	v_fma_f64 v[3:4], v[3:4], 2.0, -v[31:32]
	v_and_or_b32 v98, 0x700, v82, v81
	s_delay_alu instid0(VALU_DEP_1) | instskip(SKIP_1) | instid1(VALU_DEP_1)
	v_lshl_add_u32 v98, v98, 3, 0
	v_fma_f64 v[9:10], v[1:2], v[37:38], v[9:10]
	v_add_f64_e64 v[9:10], v[5:6], -v[9:10]
	s_delay_alu instid0(VALU_DEP_1) | instskip(SKIP_1) | instid1(VALU_DEP_2)
	v_add_f64_e32 v[13:14], v[9:10], v[79:80]
	v_fma_f64 v[5:6], v[5:6], 2.0, -v[9:10]
	v_fma_f64 v[9:10], v[9:10], 2.0, -v[13:14]
	v_add_f64_e32 v[19:20], v[13:14], v[71:72]
	s_delay_alu instid0(VALU_DEP_3) | instskip(NEXT) | instid1(VALU_DEP_3)
	v_add_f64_e64 v[11:12], v[5:6], -v[11:12]
	v_add_f64_e64 v[21:22], v[9:10], -v[65:66]
	s_delay_alu instid0(VALU_DEP_3) | instskip(NEXT) | instid1(VALU_DEP_3)
	v_add_f64_e32 v[19:20], v[75:76], v[19:20]
	v_add_f64_e32 v[84:85], v[11:12], v[63:64]
	v_fma_f64 v[5:6], v[5:6], 2.0, -v[11:12]
	s_delay_alu instid0(VALU_DEP_4) | instskip(NEXT) | instid1(VALU_DEP_4)
	v_add_f64_e32 v[21:22], v[73:74], v[21:22]
	v_fma_f64 v[13:14], v[13:14], 2.0, -v[19:20]
	s_delay_alu instid0(VALU_DEP_4) | instskip(NEXT) | instid1(VALU_DEP_4)
	v_fma_f64 v[11:12], v[11:12], 2.0, -v[84:85]
	v_add_f64_e64 v[7:8], v[5:6], -v[7:8]
	v_add_f64_e32 v[92:93], v[84:85], v[35:36]
	v_fma_f64 v[86:87], v[27:28], s[4:5], v[21:22]
	s_wait_alu 0xfffe
	v_fma_f64 v[88:89], v[45:46], s[10:11], v[13:14]
	v_fma_f64 v[9:10], v[9:10], 2.0, -v[21:22]
	s_mov_b32 s11, 0x3fed906b
	s_mov_b32 s10, 0xcf328d46
	v_add_f64_e64 v[94:95], v[11:12], -v[43:44]
	s_wait_alu 0xfffe
	v_fma_f64 v[90:91], v[15:16], s[10:11], v[19:20]
	v_fma_f64 v[5:6], v[5:6], 2.0, -v[7:8]
	v_add_f64_e32 v[92:93], v[55:56], v[92:93]
	v_add_f64_e32 v[100:101], v[7:8], v[49:50]
	v_fma_f64 v[86:87], v[41:42], s[10:11], v[86:87]
	v_fma_f64 v[88:89], v[53:54], s[10:11], v[88:89]
	s_mov_b32 s11, 0xbfed906b
	s_wait_alu 0xfffe
	v_fma_f64 v[96:97], v[33:34], s[10:11], v[9:10]
	v_add_f64_e32 v[94:95], v[51:52], v[94:95]
	v_fma_f64 v[90:91], v[23:24], s[4:5], v[90:91]
	v_add_f64_e64 v[3:4], v[5:6], -v[3:4]
	v_fma_f64 v[84:85], v[84:85], 2.0, -v[92:93]
	v_fma_f64 v[7:8], v[7:8], 2.0, -v[100:101]
	v_fma_f64 v[21:22], v[21:22], 2.0, -v[86:87]
	v_fma_f64 v[13:14], v[13:14], 2.0, -v[88:89]
	v_fma_f64 v[96:97], v[47:48], s[4:5], v[96:97]
	v_fma_f64 v[11:12], v[11:12], 2.0, -v[94:95]
	v_fma_f64 v[19:20], v[19:20], 2.0, -v[90:91]
	;; [unrolled: 1-line block ×3, first 2 shown]
	s_delay_alu instid0(VALU_DEP_4)
	v_fma_f64 v[9:10], v[9:10], 2.0, -v[96:97]
	ds_store_2addr_b64 v98, v[84:85], v[19:20] offset0:96 offset1:112
	ds_store_2addr_b64 v98, v[94:95], v[88:89] offset0:160 offset1:176
	;; [unrolled: 1-line block ×6, first 2 shown]
	ds_store_2addr_b64 v98, v[5:6], v[9:10] offset1:16
	ds_store_2addr_b64 v98, v[92:93], v[90:91] offset0:224 offset1:240
.LBB0_23:
	s_wait_alu 0xfffe
	s_or_b32 exec_lo, exec_lo, s1
	global_wb scope:SCOPE_SE
	s_wait_dscnt 0x0
	s_barrier_signal -1
	s_barrier_wait -1
	global_inv scope:SCOPE_SE
	ds_load_2addr_stride64_b64 v[3:6], v83 offset1:4
	ds_load_2addr_stride64_b64 v[11:14], v83 offset0:8 offset1:12
	ds_load_2addr_stride64_b64 v[7:10], v83 offset0:16 offset1:20
	ds_load_2addr_stride64_b64 v[19:22], v83 offset0:24 offset1:28
	global_wb scope:SCOPE_SE
	s_wait_dscnt 0x0
	s_barrier_signal -1
	s_barrier_wait -1
	global_inv scope:SCOPE_SE
	s_and_saveexec_b32 s1, s0
	s_cbranch_execz .LBB0_25
; %bb.24:
	v_mul_f64_e32 v[1:2], v[1:2], v[39:40]
	v_fma_f64 v[57:58], v[57:58], 2.0, -v[63:64]
	s_mov_b32 s4, 0xa6aea964
	s_mov_b32 s5, 0xbfd87de2
	;; [unrolled: 1-line block ×3, first 2 shown]
	s_wait_alu 0xfffe
	s_mov_b32 s10, s4
	v_fma_f64 v[29:30], v[29:30], 2.0, -v[49:50]
	s_delay_alu instid0(VALU_DEP_3) | instskip(SKIP_1) | instid1(VALU_DEP_2)
	v_fma_f64 v[1:2], v[25:26], v[37:38], -v[1:2]
	v_fma_f64 v[37:38], v[59:60], 2.0, -v[79:80]
	v_add_f64_e64 v[1:2], v[17:18], -v[1:2]
	s_delay_alu instid0(VALU_DEP_1) | instskip(SKIP_1) | instid1(VALU_DEP_2)
	v_add_f64_e64 v[25:26], v[1:2], -v[77:78]
	v_fma_f64 v[17:18], v[17:18], 2.0, -v[1:2]
	v_fma_f64 v[1:2], v[1:2], 2.0, -v[25:26]
	v_add_f64_e32 v[39:40], v[25:26], v[75:76]
	s_delay_alu instid0(VALU_DEP_3) | instskip(NEXT) | instid1(VALU_DEP_3)
	v_add_f64_e64 v[37:38], v[17:18], -v[37:38]
	v_add_f64_e64 v[59:60], v[1:2], -v[73:74]
	s_delay_alu instid0(VALU_DEP_3) | instskip(NEXT) | instid1(VALU_DEP_3)
	v_add_f64_e64 v[39:40], v[39:40], -v[71:72]
	v_add_f64_e64 v[61:62], v[37:38], -v[61:62]
	v_fma_f64 v[17:18], v[17:18], 2.0, -v[37:38]
	s_delay_alu instid0(VALU_DEP_4) | instskip(NEXT) | instid1(VALU_DEP_4)
	v_add_f64_e64 v[59:60], v[59:60], -v[65:66]
	v_fma_f64 v[25:26], v[25:26], 2.0, -v[39:40]
	s_delay_alu instid0(VALU_DEP_4) | instskip(NEXT) | instid1(VALU_DEP_4)
	v_fma_f64 v[37:38], v[37:38], 2.0, -v[61:62]
	v_add_f64_e64 v[57:58], v[17:18], -v[57:58]
	v_add_f64_e32 v[49:50], v[61:62], v[55:56]
	v_fma_f64 v[1:2], v[1:2], 2.0, -v[59:60]
	v_fma_f64 v[53:54], v[53:54], s[4:5], v[25:26]
	s_wait_alu 0xfffe
	v_fma_f64 v[41:42], v[41:42], s[10:11], v[59:60]
	s_mov_b32 s11, 0xbfed906b
	s_mov_b32 s10, 0xcf328d46
	v_add_f64_e64 v[51:52], v[37:38], -v[51:52]
	v_fma_f64 v[17:18], v[17:18], 2.0, -v[57:58]
	v_add_f64_e64 v[31:32], v[57:58], -v[31:32]
	v_add_f64_e64 v[35:36], v[49:50], -v[35:36]
	v_and_or_b32 v49, 0x700, v82, v81
	s_delay_alu instid0(VALU_DEP_1)
	v_lshl_add_u32 v49, v49, 3, 0
	s_wait_alu 0xfffe
	v_fma_f64 v[47:48], v[47:48], s[10:11], v[1:2]
	v_fma_f64 v[45:46], v[45:46], s[10:11], v[53:54]
	;; [unrolled: 1-line block ×3, first 2 shown]
	s_mov_b32 s11, 0x3fed906b
	s_wait_alu 0xfffe
	v_fma_f64 v[23:24], v[23:24], s[10:11], v[39:40]
	v_add_f64_e64 v[41:42], v[51:52], -v[43:44]
	v_add_f64_e64 v[29:30], v[17:18], -v[29:30]
	v_fma_f64 v[43:44], v[61:62], 2.0, -v[35:36]
	v_fma_f64 v[33:34], v[33:34], s[4:5], v[47:48]
	v_fma_f64 v[25:26], v[25:26], 2.0, -v[45:46]
	v_fma_f64 v[47:48], v[59:60], 2.0, -v[27:28]
	v_fma_f64 v[15:16], v[15:16], s[4:5], v[23:24]
	v_fma_f64 v[37:38], v[37:38], 2.0, -v[41:42]
	v_fma_f64 v[23:24], v[57:58], 2.0, -v[31:32]
	;; [unrolled: 1-line block ×5, first 2 shown]
	ds_store_2addr_b64 v49, v[41:42], v[45:46] offset0:160 offset1:176
	ds_store_2addr_b64 v49, v[31:32], v[27:28] offset0:192 offset1:208
	;; [unrolled: 1-line block ×5, first 2 shown]
	ds_store_2addr_b64 v49, v[17:18], v[1:2] offset1:16
	ds_store_2addr_b64 v49, v[43:44], v[39:40] offset0:96 offset1:112
	ds_store_2addr_b64 v49, v[35:36], v[15:16] offset0:224 offset1:240
.LBB0_25:
	s_wait_alu 0xfffe
	s_or_b32 exec_lo, exec_lo, s1
	global_wb scope:SCOPE_SE
	s_wait_dscnt 0x0
	s_barrier_signal -1
	s_barrier_wait -1
	global_inv scope:SCOPE_SE
	s_and_saveexec_b32 s0, vcc_lo
	s_cbranch_execz .LBB0_27
; %bb.26:
	v_mul_u32_u24_e32 v0, 7, v0
	s_mov_b32 s0, 0x667f3bcd
	s_mov_b32 s1, 0x3fe6a09e
	;; [unrolled: 1-line block ×3, first 2 shown]
	s_wait_alu 0xfffe
	s_mov_b32 s4, s0
	v_lshlrev_b32_e32 v0, 4, v0
	s_clause 0x6
	global_load_b128 v[15:18], v0, s[8:9] offset:3888
	global_load_b128 v[23:26], v0, s[8:9] offset:3856
	;; [unrolled: 1-line block ×7, first 2 shown]
	ds_load_2addr_stride64_b64 v[47:50], v83 offset1:4
	ds_load_2addr_stride64_b64 v[51:54], v83 offset0:16 offset1:20
	s_wait_loadcnt 0x6
	v_mul_f64_e32 v[0:1], v[7:8], v[17:18]
	s_wait_loadcnt 0x5
	v_mul_f64_e32 v[55:56], v[11:12], v[23:24]
	;; [unrolled: 2-line block ×7, first 2 shown]
	s_wait_dscnt 0x1
	v_mul_f64_e32 v[33:34], v[49:50], v[33:34]
	v_mul_f64_e32 v[71:72], v[11:12], v[25:26]
	;; [unrolled: 1-line block ×3, first 2 shown]
	s_wait_dscnt 0x0
	v_mul_f64_e32 v[37:38], v[53:54], v[37:38]
	v_mul_f64_e32 v[75:76], v[51:52], v[17:18]
	;; [unrolled: 1-line block ×4, first 2 shown]
	ds_load_2addr_stride64_b64 v[11:14], v83 offset0:8 offset1:12
	ds_load_2addr_stride64_b64 v[17:20], v83 offset0:24 offset1:28
	v_fma_f64 v[0:1], v[51:52], v[15:16], -v[0:1]
	s_wait_dscnt 0x1
	v_fma_f64 v[25:26], v[11:12], v[25:26], v[55:56]
	s_wait_dscnt 0x0
	v_fma_f64 v[29:30], v[17:18], v[29:30], v[57:58]
	v_fma_f64 v[49:50], v[49:50], v[31:32], -v[59:60]
	v_fma_f64 v[51:52], v[53:54], v[35:36], -v[61:62]
	v_fma_f64 v[41:42], v[13:14], v[41:42], v[63:64]
	v_fma_f64 v[45:46], v[19:20], v[45:46], v[65:66]
	;; [unrolled: 1-line block ×3, first 2 shown]
	v_fma_f64 v[11:12], v[11:12], v[23:24], -v[71:72]
	v_fma_f64 v[17:18], v[17:18], v[27:28], -v[73:74]
	v_fma_f64 v[9:10], v[9:10], v[35:36], v[37:38]
	v_fma_f64 v[7:8], v[7:8], v[15:16], v[75:76]
	v_fma_f64 v[13:14], v[13:14], v[39:40], -v[77:78]
	v_fma_f64 v[15:16], v[19:20], v[43:44], -v[21:22]
	v_add_f64_e64 v[0:1], v[47:48], -v[0:1]
	v_add_f64_e64 v[19:20], v[25:26], -v[29:30]
	;; [unrolled: 1-line block ×8, first 2 shown]
	v_fma_f64 v[31:32], v[47:48], 2.0, -v[0:1]
	v_add_f64_e64 v[27:28], v[0:1], -v[19:20]
	v_fma_f64 v[19:20], v[25:26], 2.0, -v[19:20]
	v_fma_f64 v[33:34], v[49:50], 2.0, -v[21:22]
	v_add_f64_e64 v[29:30], v[21:22], -v[23:24]
	v_fma_f64 v[23:24], v[41:42], 2.0, -v[23:24]
	v_fma_f64 v[11:12], v[11:12], 2.0, -v[17:18]
	;; [unrolled: 1-line block ×4, first 2 shown]
	v_add_f64_e32 v[25:26], v[7:8], v[17:18]
	v_fma_f64 v[13:14], v[13:14], 2.0, -v[15:16]
	v_add_f64_e32 v[15:16], v[9:10], v[15:16]
	v_fma_f64 v[37:38], v[0:1], 2.0, -v[27:28]
	v_fma_f64 v[17:18], v[21:22], 2.0, -v[29:30]
	v_add_f64_e64 v[35:36], v[31:32], -v[11:12]
	v_add_f64_e64 v[0:1], v[5:6], -v[23:24]
	;; [unrolled: 1-line block ×3, first 2 shown]
	v_fma_f64 v[39:40], v[7:8], 2.0, -v[25:26]
	v_add_f64_e64 v[11:12], v[33:34], -v[13:14]
	v_fma_f64 v[9:10], v[9:10], 2.0, -v[15:16]
	v_fma_f64 v[7:8], v[29:30], s[0:1], v[27:28]
	v_fma_f64 v[13:14], v[15:16], s[0:1], v[25:26]
	s_wait_alu 0xfffe
	v_fma_f64 v[22:23], v[17:18], s[4:5], v[37:38]
	v_fma_f64 v[31:32], v[31:32], 2.0, -v[35:36]
	v_fma_f64 v[43:44], v[5:6], 2.0, -v[0:1]
	v_fma_f64 v[41:42], v[2:3], 2.0, -v[20:21]
	v_fma_f64 v[33:34], v[33:34], 2.0, -v[11:12]
	v_fma_f64 v[45:46], v[9:10], s[4:5], v[39:40]
	v_fma_f64 v[2:3], v[15:16], s[4:5], v[7:8]
	v_add_f64_e64 v[6:7], v[35:36], -v[0:1]
	v_add_f64_e32 v[4:5], v[20:21], v[11:12]
	v_fma_f64 v[0:1], v[29:30], s[0:1], v[13:14]
	v_fma_f64 v[10:11], v[9:10], s[4:5], v[22:23]
	v_add_f64_e64 v[12:13], v[41:42], -v[43:44]
	v_mul_lo_u32 v43, s3, v69
	v_add_f64_e64 v[14:15], v[31:32], -v[33:34]
	v_fma_f64 v[8:9], v[17:18], s[0:1], v[45:46]
	v_fma_f64 v[18:19], v[27:28], 2.0, -v[2:3]
	v_fma_f64 v[22:23], v[35:36], 2.0, -v[6:7]
	;; [unrolled: 1-line block ×4, first 2 shown]
	v_mul_lo_u32 v44, s2, v70
	v_mad_co_u64_u32 v[33:34], null, s2, v69, 0
	v_lshlrev_b32_e32 v36, 4, v99
	s_delay_alu instid0(VALU_DEP_2)
	v_add3_u32 v34, v34, v44, v43
	v_fma_f64 v[26:27], v[37:38], 2.0, -v[10:11]
	v_fma_f64 v[28:29], v[41:42], 2.0, -v[12:13]
	;; [unrolled: 1-line block ×4, first 2 shown]
	v_lshlrev_b64_e32 v[32:33], 4, v[33:34]
	v_lshlrev_b64_e32 v[34:35], 4, v[67:68]
	s_delay_alu instid0(VALU_DEP_2) | instskip(SKIP_1) | instid1(VALU_DEP_3)
	v_add_co_u32 v32, vcc_lo, s6, v32
	s_wait_alu 0xfffd
	v_add_co_ci_u32_e32 v33, vcc_lo, s7, v33, vcc_lo
	s_delay_alu instid0(VALU_DEP_2) | instskip(SKIP_1) | instid1(VALU_DEP_2)
	v_add_co_u32 v32, vcc_lo, v32, v34
	s_wait_alu 0xfffd
	v_add_co_ci_u32_e32 v33, vcc_lo, v33, v35, vcc_lo
	s_delay_alu instid0(VALU_DEP_2) | instskip(SKIP_1) | instid1(VALU_DEP_2)
	v_add_co_u32 v32, vcc_lo, v32, v36
	s_wait_alu 0xfffd
	v_add_co_ci_u32_e32 v33, vcc_lo, 0, v33, vcc_lo
	s_clause 0x7
	global_store_b128 v[32:33], v[20:23], off offset:8192
	global_store_b128 v[32:33], v[16:19], off offset:12288
	;; [unrolled: 1-line block ×4, first 2 shown]
	global_store_b128 v[32:33], v[28:31], off
	global_store_b128 v[32:33], v[24:27], off offset:4096
	global_store_b128 v[32:33], v[4:7], off offset:24576
	;; [unrolled: 1-line block ×3, first 2 shown]
.LBB0_27:
	s_nop 0
	s_sendmsg sendmsg(MSG_DEALLOC_VGPRS)
	s_endpgm
	.section	.rodata,"a",@progbits
	.p2align	6, 0x0
	.amdhsa_kernel fft_rtc_back_len2048_factors_16_16_8_wgs_256_tpt_256_halfLds_dp_op_CI_CI_unitstride_sbrr_dirReg
		.amdhsa_group_segment_fixed_size 0
		.amdhsa_private_segment_fixed_size 0
		.amdhsa_kernarg_size 104
		.amdhsa_user_sgpr_count 2
		.amdhsa_user_sgpr_dispatch_ptr 0
		.amdhsa_user_sgpr_queue_ptr 0
		.amdhsa_user_sgpr_kernarg_segment_ptr 1
		.amdhsa_user_sgpr_dispatch_id 0
		.amdhsa_user_sgpr_private_segment_size 0
		.amdhsa_wavefront_size32 1
		.amdhsa_uses_dynamic_stack 0
		.amdhsa_enable_private_segment 0
		.amdhsa_system_sgpr_workgroup_id_x 1
		.amdhsa_system_sgpr_workgroup_id_y 0
		.amdhsa_system_sgpr_workgroup_id_z 0
		.amdhsa_system_sgpr_workgroup_info 0
		.amdhsa_system_vgpr_workitem_id 0
		.amdhsa_next_free_vgpr 124
		.amdhsa_next_free_sgpr 39
		.amdhsa_reserve_vcc 1
		.amdhsa_float_round_mode_32 0
		.amdhsa_float_round_mode_16_64 0
		.amdhsa_float_denorm_mode_32 3
		.amdhsa_float_denorm_mode_16_64 3
		.amdhsa_fp16_overflow 0
		.amdhsa_workgroup_processor_mode 1
		.amdhsa_memory_ordered 1
		.amdhsa_forward_progress 0
		.amdhsa_round_robin_scheduling 0
		.amdhsa_exception_fp_ieee_invalid_op 0
		.amdhsa_exception_fp_denorm_src 0
		.amdhsa_exception_fp_ieee_div_zero 0
		.amdhsa_exception_fp_ieee_overflow 0
		.amdhsa_exception_fp_ieee_underflow 0
		.amdhsa_exception_fp_ieee_inexact 0
		.amdhsa_exception_int_div_zero 0
	.end_amdhsa_kernel
	.text
.Lfunc_end0:
	.size	fft_rtc_back_len2048_factors_16_16_8_wgs_256_tpt_256_halfLds_dp_op_CI_CI_unitstride_sbrr_dirReg, .Lfunc_end0-fft_rtc_back_len2048_factors_16_16_8_wgs_256_tpt_256_halfLds_dp_op_CI_CI_unitstride_sbrr_dirReg
                                        ; -- End function
	.section	.AMDGPU.csdata,"",@progbits
; Kernel info:
; codeLenInByte = 7080
; NumSgprs: 41
; NumVgprs: 124
; ScratchSize: 0
; MemoryBound: 1
; FloatMode: 240
; IeeeMode: 1
; LDSByteSize: 0 bytes/workgroup (compile time only)
; SGPRBlocks: 5
; VGPRBlocks: 15
; NumSGPRsForWavesPerEU: 41
; NumVGPRsForWavesPerEU: 124
; Occupancy: 10
; WaveLimiterHint : 1
; COMPUTE_PGM_RSRC2:SCRATCH_EN: 0
; COMPUTE_PGM_RSRC2:USER_SGPR: 2
; COMPUTE_PGM_RSRC2:TRAP_HANDLER: 0
; COMPUTE_PGM_RSRC2:TGID_X_EN: 1
; COMPUTE_PGM_RSRC2:TGID_Y_EN: 0
; COMPUTE_PGM_RSRC2:TGID_Z_EN: 0
; COMPUTE_PGM_RSRC2:TIDIG_COMP_CNT: 0
	.text
	.p2alignl 7, 3214868480
	.fill 96, 4, 3214868480
	.type	__hip_cuid_92d133b41e5fa1d2,@object ; @__hip_cuid_92d133b41e5fa1d2
	.section	.bss,"aw",@nobits
	.globl	__hip_cuid_92d133b41e5fa1d2
__hip_cuid_92d133b41e5fa1d2:
	.byte	0                               ; 0x0
	.size	__hip_cuid_92d133b41e5fa1d2, 1

	.ident	"AMD clang version 19.0.0git (https://github.com/RadeonOpenCompute/llvm-project roc-6.4.0 25133 c7fe45cf4b819c5991fe208aaa96edf142730f1d)"
	.section	".note.GNU-stack","",@progbits
	.addrsig
	.addrsig_sym __hip_cuid_92d133b41e5fa1d2
	.amdgpu_metadata
---
amdhsa.kernels:
  - .args:
      - .actual_access:  read_only
        .address_space:  global
        .offset:         0
        .size:           8
        .value_kind:     global_buffer
      - .offset:         8
        .size:           8
        .value_kind:     by_value
      - .actual_access:  read_only
        .address_space:  global
        .offset:         16
        .size:           8
        .value_kind:     global_buffer
      - .actual_access:  read_only
        .address_space:  global
        .offset:         24
        .size:           8
        .value_kind:     global_buffer
      - .actual_access:  read_only
        .address_space:  global
        .offset:         32
        .size:           8
        .value_kind:     global_buffer
      - .offset:         40
        .size:           8
        .value_kind:     by_value
      - .actual_access:  read_only
        .address_space:  global
        .offset:         48
        .size:           8
        .value_kind:     global_buffer
      - .actual_access:  read_only
        .address_space:  global
        .offset:         56
        .size:           8
        .value_kind:     global_buffer
      - .offset:         64
        .size:           4
        .value_kind:     by_value
      - .actual_access:  read_only
        .address_space:  global
        .offset:         72
        .size:           8
        .value_kind:     global_buffer
      - .actual_access:  read_only
        .address_space:  global
        .offset:         80
        .size:           8
        .value_kind:     global_buffer
      - .actual_access:  read_only
        .address_space:  global
        .offset:         88
        .size:           8
        .value_kind:     global_buffer
      - .actual_access:  write_only
        .address_space:  global
        .offset:         96
        .size:           8
        .value_kind:     global_buffer
    .group_segment_fixed_size: 0
    .kernarg_segment_align: 8
    .kernarg_segment_size: 104
    .language:       OpenCL C
    .language_version:
      - 2
      - 0
    .max_flat_workgroup_size: 256
    .name:           fft_rtc_back_len2048_factors_16_16_8_wgs_256_tpt_256_halfLds_dp_op_CI_CI_unitstride_sbrr_dirReg
    .private_segment_fixed_size: 0
    .sgpr_count:     41
    .sgpr_spill_count: 0
    .symbol:         fft_rtc_back_len2048_factors_16_16_8_wgs_256_tpt_256_halfLds_dp_op_CI_CI_unitstride_sbrr_dirReg.kd
    .uniform_work_group_size: 1
    .uses_dynamic_stack: false
    .vgpr_count:     124
    .vgpr_spill_count: 0
    .wavefront_size: 32
    .workgroup_processor_mode: 1
amdhsa.target:   amdgcn-amd-amdhsa--gfx1201
amdhsa.version:
  - 1
  - 2
...

	.end_amdgpu_metadata
